;; amdgpu-corpus repo=ROCm/rocFFT kind=compiled arch=gfx1201 opt=O3
	.text
	.amdgcn_target "amdgcn-amd-amdhsa--gfx1201"
	.amdhsa_code_object_version 6
	.protected	fft_rtc_fwd_len1500_factors_5_10_10_3_wgs_150_tpt_150_halfLds_half_ip_CI_unitstride_sbrr_C2R_dirReg ; -- Begin function fft_rtc_fwd_len1500_factors_5_10_10_3_wgs_150_tpt_150_halfLds_half_ip_CI_unitstride_sbrr_C2R_dirReg
	.globl	fft_rtc_fwd_len1500_factors_5_10_10_3_wgs_150_tpt_150_halfLds_half_ip_CI_unitstride_sbrr_C2R_dirReg
	.p2align	8
	.type	fft_rtc_fwd_len1500_factors_5_10_10_3_wgs_150_tpt_150_halfLds_half_ip_CI_unitstride_sbrr_C2R_dirReg,@function
fft_rtc_fwd_len1500_factors_5_10_10_3_wgs_150_tpt_150_halfLds_half_ip_CI_unitstride_sbrr_C2R_dirReg: ; @fft_rtc_fwd_len1500_factors_5_10_10_3_wgs_150_tpt_150_halfLds_half_ip_CI_unitstride_sbrr_C2R_dirReg
; %bb.0:
	s_clause 0x2
	s_load_b128 s[4:7], s[0:1], 0x0
	s_load_b64 s[8:9], s[0:1], 0x50
	s_load_b64 s[10:11], s[0:1], 0x18
	v_mul_u32_u24_e32 v1, 0x1b5, v0
	v_mov_b32_e32 v3, 0
	s_delay_alu instid0(VALU_DEP_2) | instskip(NEXT) | instid1(VALU_DEP_1)
	v_lshrrev_b32_e32 v1, 16, v1
	v_add_nc_u32_e32 v5, ttmp9, v1
	v_mov_b32_e32 v1, 0
	v_mov_b32_e32 v2, 0
	;; [unrolled: 1-line block ×3, first 2 shown]
	s_wait_kmcnt 0x0
	v_cmp_lt_u64_e64 s2, s[6:7], 2
	s_delay_alu instid0(VALU_DEP_1)
	s_and_b32 vcc_lo, exec_lo, s2
	s_cbranch_vccnz .LBB0_8
; %bb.1:
	s_load_b64 s[2:3], s[0:1], 0x10
	v_mov_b32_e32 v1, 0
	v_mov_b32_e32 v2, 0
	s_add_nc_u64 s[12:13], s[10:11], 8
	s_mov_b64 s[14:15], 1
	s_wait_kmcnt 0x0
	s_add_nc_u64 s[16:17], s[2:3], 8
	s_mov_b32 s3, 0
.LBB0_2:                                ; =>This Inner Loop Header: Depth=1
	s_load_b64 s[18:19], s[16:17], 0x0
                                        ; implicit-def: $vgpr7_vgpr8
	s_mov_b32 s2, exec_lo
	s_wait_kmcnt 0x0
	v_or_b32_e32 v4, s19, v6
	s_delay_alu instid0(VALU_DEP_1)
	v_cmpx_ne_u64_e32 0, v[3:4]
	s_wait_alu 0xfffe
	s_xor_b32 s20, exec_lo, s2
	s_cbranch_execz .LBB0_4
; %bb.3:                                ;   in Loop: Header=BB0_2 Depth=1
	s_cvt_f32_u32 s2, s18
	s_cvt_f32_u32 s21, s19
	s_sub_nc_u64 s[24:25], 0, s[18:19]
	s_wait_alu 0xfffe
	s_delay_alu instid0(SALU_CYCLE_1) | instskip(SKIP_1) | instid1(SALU_CYCLE_2)
	s_fmamk_f32 s2, s21, 0x4f800000, s2
	s_wait_alu 0xfffe
	v_s_rcp_f32 s2, s2
	s_delay_alu instid0(TRANS32_DEP_1) | instskip(SKIP_1) | instid1(SALU_CYCLE_2)
	s_mul_f32 s2, s2, 0x5f7ffffc
	s_wait_alu 0xfffe
	s_mul_f32 s21, s2, 0x2f800000
	s_wait_alu 0xfffe
	s_delay_alu instid0(SALU_CYCLE_2) | instskip(SKIP_1) | instid1(SALU_CYCLE_2)
	s_trunc_f32 s21, s21
	s_wait_alu 0xfffe
	s_fmamk_f32 s2, s21, 0xcf800000, s2
	s_cvt_u32_f32 s23, s21
	s_wait_alu 0xfffe
	s_delay_alu instid0(SALU_CYCLE_1) | instskip(SKIP_1) | instid1(SALU_CYCLE_2)
	s_cvt_u32_f32 s22, s2
	s_wait_alu 0xfffe
	s_mul_u64 s[26:27], s[24:25], s[22:23]
	s_wait_alu 0xfffe
	s_mul_hi_u32 s29, s22, s27
	s_mul_i32 s28, s22, s27
	s_mul_hi_u32 s2, s22, s26
	s_mul_i32 s30, s23, s26
	s_wait_alu 0xfffe
	s_add_nc_u64 s[28:29], s[2:3], s[28:29]
	s_mul_hi_u32 s21, s23, s26
	s_mul_hi_u32 s31, s23, s27
	s_add_co_u32 s2, s28, s30
	s_wait_alu 0xfffe
	s_add_co_ci_u32 s2, s29, s21
	s_mul_i32 s26, s23, s27
	s_add_co_ci_u32 s27, s31, 0
	s_wait_alu 0xfffe
	s_add_nc_u64 s[26:27], s[2:3], s[26:27]
	s_wait_alu 0xfffe
	v_add_co_u32 v4, s2, s22, s26
	s_delay_alu instid0(VALU_DEP_1) | instskip(SKIP_1) | instid1(VALU_DEP_1)
	s_cmp_lg_u32 s2, 0
	s_add_co_ci_u32 s23, s23, s27
	v_readfirstlane_b32 s22, v4
	s_wait_alu 0xfffe
	s_delay_alu instid0(VALU_DEP_1)
	s_mul_u64 s[24:25], s[24:25], s[22:23]
	s_wait_alu 0xfffe
	s_mul_hi_u32 s27, s22, s25
	s_mul_i32 s26, s22, s25
	s_mul_hi_u32 s2, s22, s24
	s_mul_i32 s28, s23, s24
	s_wait_alu 0xfffe
	s_add_nc_u64 s[26:27], s[2:3], s[26:27]
	s_mul_hi_u32 s21, s23, s24
	s_mul_hi_u32 s22, s23, s25
	s_wait_alu 0xfffe
	s_add_co_u32 s2, s26, s28
	s_add_co_ci_u32 s2, s27, s21
	s_mul_i32 s24, s23, s25
	s_add_co_ci_u32 s25, s22, 0
	s_wait_alu 0xfffe
	s_add_nc_u64 s[24:25], s[2:3], s[24:25]
	s_wait_alu 0xfffe
	v_add_co_u32 v4, s2, v4, s24
	s_delay_alu instid0(VALU_DEP_1) | instskip(SKIP_1) | instid1(VALU_DEP_1)
	s_cmp_lg_u32 s2, 0
	s_add_co_ci_u32 s2, s23, s25
	v_mul_hi_u32 v13, v5, v4
	s_wait_alu 0xfffe
	v_mad_co_u64_u32 v[7:8], null, v5, s2, 0
	v_mad_co_u64_u32 v[9:10], null, v6, v4, 0
	;; [unrolled: 1-line block ×3, first 2 shown]
	s_delay_alu instid0(VALU_DEP_3) | instskip(SKIP_1) | instid1(VALU_DEP_4)
	v_add_co_u32 v4, vcc_lo, v13, v7
	s_wait_alu 0xfffd
	v_add_co_ci_u32_e32 v7, vcc_lo, 0, v8, vcc_lo
	s_delay_alu instid0(VALU_DEP_2) | instskip(SKIP_1) | instid1(VALU_DEP_2)
	v_add_co_u32 v4, vcc_lo, v4, v9
	s_wait_alu 0xfffd
	v_add_co_ci_u32_e32 v4, vcc_lo, v7, v10, vcc_lo
	s_wait_alu 0xfffd
	v_add_co_ci_u32_e32 v7, vcc_lo, 0, v12, vcc_lo
	s_delay_alu instid0(VALU_DEP_2) | instskip(SKIP_1) | instid1(VALU_DEP_2)
	v_add_co_u32 v4, vcc_lo, v4, v11
	s_wait_alu 0xfffd
	v_add_co_ci_u32_e32 v9, vcc_lo, 0, v7, vcc_lo
	s_delay_alu instid0(VALU_DEP_2) | instskip(SKIP_1) | instid1(VALU_DEP_3)
	v_mul_lo_u32 v10, s19, v4
	v_mad_co_u64_u32 v[7:8], null, s18, v4, 0
	v_mul_lo_u32 v11, s18, v9
	s_delay_alu instid0(VALU_DEP_2) | instskip(NEXT) | instid1(VALU_DEP_2)
	v_sub_co_u32 v7, vcc_lo, v5, v7
	v_add3_u32 v8, v8, v11, v10
	s_delay_alu instid0(VALU_DEP_1) | instskip(SKIP_1) | instid1(VALU_DEP_1)
	v_sub_nc_u32_e32 v10, v6, v8
	s_wait_alu 0xfffd
	v_subrev_co_ci_u32_e64 v10, s2, s19, v10, vcc_lo
	v_add_co_u32 v11, s2, v4, 2
	s_wait_alu 0xf1ff
	v_add_co_ci_u32_e64 v12, s2, 0, v9, s2
	v_sub_co_u32 v13, s2, v7, s18
	v_sub_co_ci_u32_e32 v8, vcc_lo, v6, v8, vcc_lo
	s_wait_alu 0xf1ff
	v_subrev_co_ci_u32_e64 v10, s2, 0, v10, s2
	s_delay_alu instid0(VALU_DEP_3) | instskip(NEXT) | instid1(VALU_DEP_3)
	v_cmp_le_u32_e32 vcc_lo, s18, v13
	v_cmp_eq_u32_e64 s2, s19, v8
	s_wait_alu 0xfffd
	v_cndmask_b32_e64 v13, 0, -1, vcc_lo
	v_cmp_le_u32_e32 vcc_lo, s19, v10
	s_wait_alu 0xfffd
	v_cndmask_b32_e64 v14, 0, -1, vcc_lo
	v_cmp_le_u32_e32 vcc_lo, s18, v7
	;; [unrolled: 3-line block ×3, first 2 shown]
	s_wait_alu 0xfffd
	v_cndmask_b32_e64 v15, 0, -1, vcc_lo
	v_cmp_eq_u32_e32 vcc_lo, s19, v10
	s_wait_alu 0xf1ff
	s_delay_alu instid0(VALU_DEP_2)
	v_cndmask_b32_e64 v7, v15, v7, s2
	s_wait_alu 0xfffd
	v_cndmask_b32_e32 v10, v14, v13, vcc_lo
	v_add_co_u32 v13, vcc_lo, v4, 1
	s_wait_alu 0xfffd
	v_add_co_ci_u32_e32 v14, vcc_lo, 0, v9, vcc_lo
	s_delay_alu instid0(VALU_DEP_3) | instskip(SKIP_2) | instid1(VALU_DEP_3)
	v_cmp_ne_u32_e32 vcc_lo, 0, v10
	s_wait_alu 0xfffd
	v_cndmask_b32_e32 v10, v13, v11, vcc_lo
	v_cndmask_b32_e32 v8, v14, v12, vcc_lo
	v_cmp_ne_u32_e32 vcc_lo, 0, v7
	s_wait_alu 0xfffd
	s_delay_alu instid0(VALU_DEP_2)
	v_dual_cndmask_b32 v7, v4, v10 :: v_dual_cndmask_b32 v8, v9, v8
.LBB0_4:                                ;   in Loop: Header=BB0_2 Depth=1
	s_wait_alu 0xfffe
	s_and_not1_saveexec_b32 s2, s20
	s_cbranch_execz .LBB0_6
; %bb.5:                                ;   in Loop: Header=BB0_2 Depth=1
	v_cvt_f32_u32_e32 v4, s18
	s_sub_co_i32 s20, 0, s18
	s_delay_alu instid0(VALU_DEP_1) | instskip(NEXT) | instid1(TRANS32_DEP_1)
	v_rcp_iflag_f32_e32 v4, v4
	v_mul_f32_e32 v4, 0x4f7ffffe, v4
	s_delay_alu instid0(VALU_DEP_1) | instskip(SKIP_1) | instid1(VALU_DEP_1)
	v_cvt_u32_f32_e32 v4, v4
	s_wait_alu 0xfffe
	v_mul_lo_u32 v7, s20, v4
	s_delay_alu instid0(VALU_DEP_1) | instskip(NEXT) | instid1(VALU_DEP_1)
	v_mul_hi_u32 v7, v4, v7
	v_add_nc_u32_e32 v4, v4, v7
	s_delay_alu instid0(VALU_DEP_1) | instskip(NEXT) | instid1(VALU_DEP_1)
	v_mul_hi_u32 v4, v5, v4
	v_mul_lo_u32 v7, v4, s18
	v_add_nc_u32_e32 v8, 1, v4
	s_delay_alu instid0(VALU_DEP_2) | instskip(NEXT) | instid1(VALU_DEP_1)
	v_sub_nc_u32_e32 v7, v5, v7
	v_subrev_nc_u32_e32 v9, s18, v7
	v_cmp_le_u32_e32 vcc_lo, s18, v7
	s_wait_alu 0xfffd
	s_delay_alu instid0(VALU_DEP_2) | instskip(NEXT) | instid1(VALU_DEP_1)
	v_dual_cndmask_b32 v7, v7, v9 :: v_dual_cndmask_b32 v4, v4, v8
	v_cmp_le_u32_e32 vcc_lo, s18, v7
	s_delay_alu instid0(VALU_DEP_2) | instskip(SKIP_1) | instid1(VALU_DEP_1)
	v_add_nc_u32_e32 v8, 1, v4
	s_wait_alu 0xfffd
	v_dual_cndmask_b32 v7, v4, v8 :: v_dual_mov_b32 v8, v3
.LBB0_6:                                ;   in Loop: Header=BB0_2 Depth=1
	s_wait_alu 0xfffe
	s_or_b32 exec_lo, exec_lo, s2
	s_load_b64 s[20:21], s[12:13], 0x0
	s_delay_alu instid0(VALU_DEP_1)
	v_mul_lo_u32 v4, v8, s18
	v_mul_lo_u32 v11, v7, s19
	v_mad_co_u64_u32 v[9:10], null, v7, s18, 0
	s_add_nc_u64 s[14:15], s[14:15], 1
	s_add_nc_u64 s[12:13], s[12:13], 8
	s_wait_alu 0xfffe
	v_cmp_ge_u64_e64 s2, s[14:15], s[6:7]
	s_add_nc_u64 s[16:17], s[16:17], 8
	s_delay_alu instid0(VALU_DEP_2) | instskip(NEXT) | instid1(VALU_DEP_3)
	v_add3_u32 v4, v10, v11, v4
	v_sub_co_u32 v5, vcc_lo, v5, v9
	s_wait_alu 0xfffd
	s_delay_alu instid0(VALU_DEP_2) | instskip(SKIP_3) | instid1(VALU_DEP_2)
	v_sub_co_ci_u32_e32 v4, vcc_lo, v6, v4, vcc_lo
	s_and_b32 vcc_lo, exec_lo, s2
	s_wait_kmcnt 0x0
	v_mul_lo_u32 v6, s21, v5
	v_mul_lo_u32 v4, s20, v4
	v_mad_co_u64_u32 v[1:2], null, s20, v5, v[1:2]
	s_delay_alu instid0(VALU_DEP_1)
	v_add3_u32 v2, v6, v2, v4
	s_wait_alu 0xfffe
	s_cbranch_vccnz .LBB0_9
; %bb.7:                                ;   in Loop: Header=BB0_2 Depth=1
	v_dual_mov_b32 v5, v7 :: v_dual_mov_b32 v6, v8
	s_branch .LBB0_2
.LBB0_8:
	v_dual_mov_b32 v8, v6 :: v_dual_mov_b32 v7, v5
.LBB0_9:
	s_lshl_b64 s[2:3], s[6:7], 3
	v_mul_hi_u32 v5, 0x1b4e81c, v0
	s_wait_alu 0xfffe
	s_add_nc_u64 s[2:3], s[10:11], s[2:3]
	s_load_b64 s[2:3], s[2:3], 0x0
	s_load_b64 s[0:1], s[0:1], 0x20
	s_wait_kmcnt 0x0
	v_mul_lo_u32 v3, s2, v8
	v_mul_lo_u32 v4, s3, v7
	v_mad_co_u64_u32 v[1:2], null, s2, v7, v[1:2]
	v_cmp_gt_u64_e32 vcc_lo, s[0:1], v[7:8]
	s_delay_alu instid0(VALU_DEP_2) | instskip(SKIP_1) | instid1(VALU_DEP_2)
	v_add3_u32 v2, v4, v2, v3
	v_mul_u32_u24_e32 v4, 0x96, v5
	v_lshlrev_b64_e32 v[2:3], 2, v[1:2]
	s_delay_alu instid0(VALU_DEP_2)
	v_sub_nc_u32_e32 v0, v0, v4
	s_and_saveexec_b32 s1, vcc_lo
	s_cbranch_execz .LBB0_13
; %bb.10:
	v_mov_b32_e32 v1, 0
	s_delay_alu instid0(VALU_DEP_3) | instskip(SKIP_2) | instid1(VALU_DEP_3)
	v_add_co_u32 v4, s0, s8, v2
	s_wait_alu 0xf1ff
	v_add_co_ci_u32_e64 v5, s0, s9, v3, s0
	v_lshlrev_b64_e32 v[6:7], 2, v[0:1]
	s_mov_b32 s2, exec_lo
	s_delay_alu instid0(VALU_DEP_1) | instskip(SKIP_1) | instid1(VALU_DEP_2)
	v_add_co_u32 v6, s0, v4, v6
	s_wait_alu 0xf1ff
	v_add_co_ci_u32_e64 v7, s0, v5, v7, s0
	s_clause 0x9
	global_load_b32 v8, v[6:7], off
	global_load_b32 v9, v[6:7], off offset:600
	global_load_b32 v10, v[6:7], off offset:1200
	;; [unrolled: 1-line block ×9, first 2 shown]
	v_lshl_add_u32 v7, v0, 2, 0
	s_delay_alu instid0(VALU_DEP_1)
	v_add_nc_u32_e32 v18, 0x800, v7
	v_add_nc_u32_e32 v17, 0x400, v7
	;; [unrolled: 1-line block ×4, first 2 shown]
	s_wait_loadcnt 0x8
	ds_store_2addr_b32 v7, v8, v9 offset1:150
	s_wait_loadcnt 0x6
	ds_store_2addr_b32 v17, v10, v11 offset0:44 offset1:194
	s_wait_loadcnt 0x4
	ds_store_2addr_b32 v18, v12, v13 offset0:88 offset1:238
	;; [unrolled: 2-line block ×4, first 2 shown]
	v_cmpx_eq_u32_e32 0x95, v0
	s_cbranch_execz .LBB0_12
; %bb.11:
	global_load_b32 v4, v[4:5], off offset:6000
	v_mov_b32_e32 v0, 0x95
	s_wait_loadcnt 0x0
	ds_store_b32 v1, v4 offset:6000
.LBB0_12:
	s_wait_alu 0xfffe
	s_or_b32 exec_lo, exec_lo, s2
.LBB0_13:
	s_wait_alu 0xfffe
	s_or_b32 exec_lo, exec_lo, s1
	v_lshlrev_b32_e32 v1, 2, v0
	global_wb scope:SCOPE_SE
	s_wait_dscnt 0x0
	s_barrier_signal -1
	s_barrier_wait -1
	global_inv scope:SCOPE_SE
	v_add_nc_u32_e32 v14, 0, v1
	v_sub_nc_u32_e32 v6, 0, v1
	s_mov_b32 s1, exec_lo
                                        ; implicit-def: $vgpr4_vgpr5
	ds_load_u16 v9, v14
	ds_load_u16 v10, v6 offset:6000
	s_wait_dscnt 0x0
	v_add_f16_e32 v8, v10, v9
	v_sub_f16_e32 v7, v9, v10
	v_cmpx_ne_u32_e32 0, v0
	s_wait_alu 0xfffe
	s_xor_b32 s1, exec_lo, s1
	s_cbranch_execz .LBB0_15
; %bb.14:
	v_mov_b32_e32 v1, 0
	v_add_f16_e32 v8, v10, v9
	v_sub_f16_e32 v9, v9, v10
	s_delay_alu instid0(VALU_DEP_3) | instskip(NEXT) | instid1(VALU_DEP_1)
	v_lshlrev_b64_e32 v[4:5], 2, v[0:1]
	v_add_co_u32 v4, s0, s4, v4
	s_wait_alu 0xf1ff
	s_delay_alu instid0(VALU_DEP_2)
	v_add_co_ci_u32_e64 v5, s0, s5, v5, s0
	global_load_b32 v4, v[4:5], off offset:5980
	ds_load_u16 v5, v6 offset:6002
	ds_load_u16 v7, v14 offset:2
	s_wait_dscnt 0x0
	v_add_f16_e32 v10, v5, v7
	v_sub_f16_e32 v5, v7, v5
	s_wait_loadcnt 0x0
	v_lshrrev_b32_e32 v11, 16, v4
	s_delay_alu instid0(VALU_DEP_1) | instskip(NEXT) | instid1(VALU_DEP_3)
	v_fma_f16 v12, -v9, v11, v8
	v_fma_f16 v13, v10, v11, -v5
	v_fma_f16 v7, v10, v11, v5
	v_fma_f16 v8, v9, v11, v8
	s_delay_alu instid0(VALU_DEP_4) | instskip(NEXT) | instid1(VALU_DEP_4)
	v_fmac_f16_e32 v12, v4, v10
	v_fmac_f16_e32 v13, v9, v4
	s_delay_alu instid0(VALU_DEP_4) | instskip(NEXT) | instid1(VALU_DEP_4)
	v_fmac_f16_e32 v7, v9, v4
	v_fma_f16 v8, -v4, v10, v8
	v_dual_mov_b32 v5, v1 :: v_dual_mov_b32 v4, v0
	s_delay_alu instid0(VALU_DEP_4)
	v_pack_b32_f16 v9, v12, v13
	ds_store_b32 v6, v9 offset:6000
.LBB0_15:
	s_wait_alu 0xfffe
	s_and_not1_saveexec_b32 s0, s1
	s_cbranch_execz .LBB0_17
; %bb.16:
	v_mov_b32_e32 v1, 0
	ds_load_b32 v4, v1 offset:3000
	s_wait_dscnt 0x0
	v_pk_mul_f16 v9, 0xc0004000, v4
	v_mov_b32_e32 v4, 0
	v_mov_b32_e32 v5, 0
	ds_store_b32 v1, v9 offset:3000
.LBB0_17:
	s_wait_alu 0xfffe
	s_or_b32 exec_lo, exec_lo, s0
	v_lshlrev_b64_e32 v[4:5], 2, v[4:5]
	s_add_nc_u64 s[0:1], s[4:5], 0x175c
	v_and_b32_e32 v18, 0xff, v0
	s_wait_alu 0xfffe
	s_delay_alu instid0(VALU_DEP_2)
	v_add_co_u32 v4, s0, s0, v4
	s_wait_alu 0xf1ff
	v_add_co_ci_u32_e64 v5, s0, s1, v5, s0
	v_cmp_gt_u32_e64 s0, 50, v0
	s_clause 0x3
	global_load_b32 v1, v[4:5], off offset:600
	global_load_b32 v9, v[4:5], off offset:1200
	;; [unrolled: 1-line block ×4, first 2 shown]
	v_perm_b32 v5, v7, v8, 0x5040100
	ds_store_b32 v14, v5
	ds_load_b32 v5, v14 offset:600
	ds_load_b32 v7, v6 offset:5400
	s_wait_dscnt 0x1
	v_lshrrev_b32_e32 v8, 16, v5
	s_wait_dscnt 0x0
	v_lshrrev_b32_e32 v11, 16, v7
	v_add_f16_e32 v12, v5, v7
	v_sub_f16_e32 v5, v5, v7
	s_delay_alu instid0(VALU_DEP_3) | instskip(SKIP_3) | instid1(VALU_DEP_1)
	v_add_f16_e32 v7, v11, v8
	v_sub_f16_e32 v8, v8, v11
	s_wait_loadcnt 0x3
	v_lshrrev_b32_e32 v13, 16, v1
	v_fma_f16 v11, v5, v13, v12
	s_delay_alu instid0(VALU_DEP_3) | instskip(SKIP_2) | instid1(VALU_DEP_4)
	v_fma_f16 v15, v7, v13, v8
	v_fma_f16 v12, -v5, v13, v12
	v_fma_f16 v8, v7, v13, -v8
	v_fma_f16 v11, -v1, v7, v11
	s_delay_alu instid0(VALU_DEP_4) | instskip(NEXT) | instid1(VALU_DEP_4)
	v_fmac_f16_e32 v15, v5, v1
	v_fmac_f16_e32 v12, v1, v7
	s_delay_alu instid0(VALU_DEP_4) | instskip(NEXT) | instid1(VALU_DEP_3)
	v_fmac_f16_e32 v8, v5, v1
	v_pack_b32_f16 v1, v11, v15
	s_wait_loadcnt 0x2
	v_lshrrev_b32_e32 v11, 16, v9
	s_delay_alu instid0(VALU_DEP_3)
	v_pack_b32_f16 v5, v12, v8
	v_add_nc_u32_e32 v15, 0xe00, v14
	ds_store_b32 v14, v1 offset:600
	ds_store_b32 v6, v5 offset:5400
	ds_load_b32 v1, v14 offset:1200
	ds_load_b32 v5, v6 offset:4800
	s_wait_dscnt 0x1
	v_lshrrev_b32_e32 v7, 16, v1
	s_wait_dscnt 0x0
	v_lshrrev_b32_e32 v8, 16, v5
	v_add_f16_e32 v12, v1, v5
	v_sub_f16_e32 v1, v1, v5
	s_delay_alu instid0(VALU_DEP_3) | instskip(SKIP_1) | instid1(VALU_DEP_3)
	v_add_f16_e32 v5, v8, v7
	v_sub_f16_e32 v7, v7, v8
	v_fma_f16 v8, v1, v11, v12
	v_fma_f16 v12, -v1, v11, v12
	s_delay_alu instid0(VALU_DEP_3) | instskip(SKIP_1) | instid1(VALU_DEP_4)
	v_fma_f16 v13, v5, v11, v7
	v_fma_f16 v7, v5, v11, -v7
	v_fma_f16 v8, -v9, v5, v8
	s_delay_alu instid0(VALU_DEP_4) | instskip(NEXT) | instid1(VALU_DEP_4)
	v_fmac_f16_e32 v12, v9, v5
	v_fmac_f16_e32 v13, v1, v9
	s_delay_alu instid0(VALU_DEP_4) | instskip(SKIP_2) | instid1(VALU_DEP_3)
	v_fmac_f16_e32 v7, v1, v9
	s_wait_loadcnt 0x1
	v_lshrrev_b32_e32 v9, 16, v10
	v_pack_b32_f16 v1, v8, v13
	s_delay_alu instid0(VALU_DEP_3)
	v_pack_b32_f16 v5, v12, v7
	ds_store_b32 v14, v1 offset:1200
	ds_store_b32 v6, v5 offset:4800
	ds_load_b32 v1, v14 offset:1800
	ds_load_b32 v5, v6 offset:4200
	s_wait_dscnt 0x1
	v_lshrrev_b32_e32 v7, 16, v1
	s_wait_dscnt 0x0
	v_lshrrev_b32_e32 v8, 16, v5
	v_add_f16_e32 v11, v1, v5
	v_sub_f16_e32 v1, v1, v5
	s_delay_alu instid0(VALU_DEP_3) | instskip(SKIP_1) | instid1(VALU_DEP_3)
	v_add_f16_e32 v5, v8, v7
	v_sub_f16_e32 v7, v7, v8
	v_fma_f16 v8, v1, v9, v11
	v_fma_f16 v11, -v1, v9, v11
	s_delay_alu instid0(VALU_DEP_3) | instskip(SKIP_1) | instid1(VALU_DEP_4)
	v_fma_f16 v12, v5, v9, v7
	v_fma_f16 v7, v5, v9, -v7
	v_fma_f16 v8, -v10, v5, v8
	s_delay_alu instid0(VALU_DEP_4) | instskip(SKIP_4) | instid1(VALU_DEP_2)
	v_fmac_f16_e32 v11, v10, v5
	s_wait_loadcnt 0x0
	v_lshrrev_b32_e32 v9, 16, v4
	v_fmac_f16_e32 v12, v1, v10
	v_fmac_f16_e32 v7, v1, v10
	v_pack_b32_f16 v1, v8, v12
	s_delay_alu instid0(VALU_DEP_2)
	v_pack_b32_f16 v5, v11, v7
	ds_store_b32 v14, v1 offset:1800
	ds_store_b32 v6, v5 offset:4200
	ds_load_b32 v1, v14 offset:2400
	ds_load_b32 v5, v6 offset:3600
	s_wait_dscnt 0x1
	v_lshrrev_b32_e32 v7, 16, v1
	s_wait_dscnt 0x0
	v_lshrrev_b32_e32 v8, 16, v5
	v_add_f16_e32 v10, v1, v5
	v_sub_f16_e32 v1, v1, v5
	s_delay_alu instid0(VALU_DEP_3) | instskip(SKIP_2) | instid1(VALU_DEP_4)
	v_add_f16_e32 v5, v8, v7
	v_sub_f16_e32 v7, v7, v8
	v_mul_lo_u16 v8, 0xcd, v18
	v_fma_f16 v11, v1, v9, v10
	v_fma_f16 v10, -v1, v9, v10
	s_delay_alu instid0(VALU_DEP_4)
	v_fma_f16 v12, v5, v9, v7
	v_fma_f16 v7, v5, v9, -v7
	v_lshrrev_b16 v20, 10, v8
	v_fma_f16 v8, -v4, v5, v11
	v_fmac_f16_e32 v10, v4, v5
	v_fmac_f16_e32 v12, v1, v4
	;; [unrolled: 1-line block ×3, first 2 shown]
	v_mul_lo_u16 v9, v20, 5
	v_add_nc_u32_e32 v1, 0x400, v14
	v_add_nc_u32_e32 v4, 0x800, v14
	v_pack_b32_f16 v8, v8, v12
	v_pack_b32_f16 v7, v10, v7
	v_add_nc_u32_e32 v5, 0x1200, v14
	v_sub_nc_u16 v19, v0, v9
	ds_store_b32 v14, v8 offset:2400
	ds_store_b32 v6, v7 offset:3600
	global_wb scope:SCOPE_SE
	s_wait_dscnt 0x0
	s_barrier_signal -1
	s_barrier_wait -1
	global_inv scope:SCOPE_SE
	global_wb scope:SCOPE_SE
	s_barrier_signal -1
	s_barrier_wait -1
	global_inv scope:SCOPE_SE
	ds_load_2addr_b32 v[6:7], v14 offset1:150
	ds_load_2addr_b32 v[8:9], v1 offset0:44 offset1:194
	ds_load_2addr_b32 v[10:11], v4 offset0:88 offset1:238
	;; [unrolled: 1-line block ×4, first 2 shown]
	v_and_b32_e32 v26, 0xff, v19
	v_lshl_add_u32 v19, v0, 4, v14
	global_wb scope:SCOPE_SE
	s_wait_dscnt 0x0
	s_barrier_signal -1
	s_barrier_wait -1
	v_mul_u32_u24_e32 v21, 9, v26
	v_add_nc_u32_e32 v22, 0xbb8, v19
	v_add_nc_u32_e32 v23, 0xbc0, v19
	global_inv scope:SCOPE_SE
	v_lshlrev_b32_e32 v26, 2, v26
	v_lshlrev_b32_e32 v21, 2, v21
	v_pk_add_f16 v24, v6, v8
	v_pk_add_f16 v29, v8, v10 neg_lo:[0,1] neg_hi:[0,1]
	v_pk_add_f16 v25, v10, v12
	v_pk_add_f16 v27, v8, v16 neg_lo:[0,1] neg_hi:[0,1]
	v_pk_add_f16 v28, v10, v12 neg_lo:[0,1] neg_hi:[0,1]
	;; [unrolled: 1-line block ×3, first 2 shown]
	v_pk_add_f16 v31, v8, v16
	v_pk_add_f16 v33, v7, v9
	;; [unrolled: 1-line block ×3, first 2 shown]
	v_pk_add_f16 v35, v9, v17 neg_lo:[0,1] neg_hi:[0,1]
	v_pk_add_f16 v36, v11, v13 neg_lo:[0,1] neg_hi:[0,1]
	v_pk_add_f16 v39, v9, v17
	v_pk_add_f16 v8, v10, v8 neg_lo:[0,1] neg_hi:[0,1]
	v_pk_add_f16 v32, v12, v16 neg_lo:[0,1] neg_hi:[0,1]
	;; [unrolled: 1-line block ×4, first 2 shown]
	v_pk_add_f16 v10, v24, v10
	v_pk_fma_f16 v24, v25, 0.5, v6 op_sel_hi:[1,0,1] neg_lo:[1,0,0] neg_hi:[1,0,0]
	v_pk_mul_f16 v25, 0x3b9c, v27 op_sel_hi:[0,1]
	v_pk_mul_f16 v41, 0x38b4, v28 op_sel_hi:[0,1]
	v_pk_add_f16 v29, v29, v30
	v_pk_fma_f16 v6, v31, 0.5, v6 op_sel_hi:[1,0,1] neg_lo:[1,0,0] neg_hi:[1,0,0]
	v_pk_mul_f16 v28, 0x3b9c, v28 op_sel_hi:[0,1]
	v_pk_add_f16 v11, v33, v11
	v_pk_fma_f16 v30, v34, 0.5, v7 op_sel_hi:[1,0,1] neg_lo:[1,0,0] neg_hi:[1,0,0]
	v_pk_mul_f16 v31, 0x3b9c, v35 op_sel_hi:[0,1]
	v_pk_fma_f16 v7, v39, 0.5, v7 op_sel_hi:[1,0,1] neg_lo:[1,0,0] neg_hi:[1,0,0]
	v_pk_mul_f16 v34, 0x3b9c, v36 op_sel_hi:[0,1]
	v_pk_add_f16 v38, v17, v13 neg_lo:[0,1] neg_hi:[0,1]
	v_pk_add_f16 v40, v13, v17 neg_lo:[0,1] neg_hi:[0,1]
	v_pk_add_f16 v8, v8, v32
	v_pk_mul_f16 v32, 0x38b4, v36 op_sel_hi:[0,1]
	v_pk_add_f16 v10, v10, v12
	v_pk_add_f16 v12, v24, v25 op_sel:[0,1] op_sel_hi:[1,0]
	v_pk_add_f16 v24, v24, v25 op_sel:[0,1] op_sel_hi:[1,0] neg_lo:[0,1] neg_hi:[0,1]
	v_pk_add_f16 v25, v6, v28 op_sel:[0,1] op_sel_hi:[1,0] neg_lo:[0,1] neg_hi:[0,1]
	v_pk_add_f16 v6, v6, v28 op_sel:[0,1] op_sel_hi:[1,0]
	v_pk_add_f16 v11, v11, v13
	v_pk_add_f16 v13, v30, v31 op_sel:[0,1] op_sel_hi:[1,0]
	v_pk_add_f16 v28, v30, v31 op_sel:[0,1] op_sel_hi:[1,0] neg_lo:[0,1] neg_hi:[0,1]
	v_pk_mul_f16 v27, 0x38b4, v27 op_sel_hi:[0,1]
	v_pk_mul_f16 v35, 0x38b4, v35 op_sel_hi:[0,1]
	v_pk_add_f16 v30, v7, v34 op_sel:[0,1] op_sel_hi:[1,0] neg_lo:[0,1] neg_hi:[0,1]
	v_pk_add_f16 v7, v7, v34 op_sel:[0,1] op_sel_hi:[1,0]
	v_pk_add_f16 v10, v10, v16
	v_pk_add_f16 v12, v12, v41 op_sel:[0,1] op_sel_hi:[1,0]
	v_pk_add_f16 v16, v24, v41 op_sel:[0,1] op_sel_hi:[1,0] neg_lo:[0,1] neg_hi:[0,1]
	v_pk_add_f16 v11, v11, v17
	v_pk_add_f16 v13, v13, v32 op_sel:[0,1] op_sel_hi:[1,0]
	v_pk_add_f16 v17, v28, v32 op_sel:[0,1] op_sel_hi:[1,0] neg_lo:[0,1] neg_hi:[0,1]
	v_pk_add_f16 v24, v25, v27 op_sel:[0,1] op_sel_hi:[1,0]
	v_pk_add_f16 v6, v6, v27 op_sel:[0,1] op_sel_hi:[1,0] neg_lo:[0,1] neg_hi:[0,1]
	;; [unrolled: 2-line block ×3, first 2 shown]
	v_pk_add_f16 v33, v37, v38
	v_bfi_b32 v27, 0xffff, v12, v16
	v_bfi_b32 v12, 0xffff, v16, v12
	;; [unrolled: 1-line block ×3, first 2 shown]
	v_pk_add_f16 v9, v9, v40
	v_bfi_b32 v28, 0xffff, v24, v6
	v_bfi_b32 v6, 0xffff, v6, v24
	;; [unrolled: 1-line block ×5, first 2 shown]
	v_pk_fma_f16 v16, 0x34f2, v33, v16 op_sel_hi:[0,1,1]
	v_pk_fma_f16 v17, 0x34f2, v29, v27 op_sel_hi:[0,1,1]
	;; [unrolled: 1-line block ×8, first 2 shown]
	ds_store_2addr_b32 v22, v11, v16 offset1:1
	ds_store_2addr_b32 v23, v24, v7 offset1:1
	;; [unrolled: 1-line block ×3, first 2 shown]
	ds_store_2addr_b32 v19, v25, v6 offset0:2 offset1:3
	ds_store_b32 v19, v8 offset:16
	ds_store_b32 v19, v9 offset:3016
	global_wb scope:SCOPE_SE
	s_wait_dscnt 0x0
	s_barrier_signal -1
	s_barrier_wait -1
	global_inv scope:SCOPE_SE
	s_clause 0x2
	global_load_b128 v[6:9], v21, s[4:5]
	global_load_b128 v[10:13], v21, s[4:5] offset:16
	global_load_b32 v27, v21, s[4:5] offset:32
	v_mul_lo_u16 v16, v18, 41
	v_and_b32_e32 v24, 0xffff, v20
	s_delay_alu instid0(VALU_DEP_2) | instskip(NEXT) | instid1(VALU_DEP_2)
	v_lshrrev_b16 v28, 11, v16
	v_mul_u32_u24_e32 v30, 0xc8, v24
	s_delay_alu instid0(VALU_DEP_2) | instskip(NEXT) | instid1(VALU_DEP_2)
	v_mul_lo_u16 v16, v28, 50
	v_add3_u32 v26, 0, v30, v26
	s_delay_alu instid0(VALU_DEP_2)
	v_sub_nc_u16 v22, v0, v16
	ds_load_2addr_b32 v[16:17], v14 offset1:150
	ds_load_2addr_b32 v[18:19], v15 offset0:4 offset1:154
	ds_load_2addr_b32 v[20:21], v5 offset0:48 offset1:198
	;; [unrolled: 1-line block ×3, first 2 shown]
	v_and_b32_e32 v29, 0xff, v22
	ds_load_2addr_b32 v[22:23], v1 offset0:44 offset1:194
	global_wb scope:SCOPE_SE
	s_wait_loadcnt_dscnt 0x0
	s_barrier_signal -1
	s_barrier_wait -1
	v_mul_u32_u24_e32 v31, 9, v29
	global_inv scope:SCOPE_SE
	v_lshlrev_b32_e32 v30, 2, v31
	v_lshrrev_b32_e32 v36, 16, v17
	v_lshrrev_b32_e32 v32, 16, v18
	;; [unrolled: 1-line block ×19, first 2 shown]
	v_mul_f16_e32 v50, v41, v36
	v_mul_f16_e32 v41, v41, v17
	;; [unrolled: 1-line block ×18, first 2 shown]
	v_fma_f16 v17, v6, v17, -v50
	v_fmac_f16_e32 v41, v6, v36
	v_fma_f16 v6, v7, v22, -v51
	v_fmac_f16_e32 v42, v7, v37
	;; [unrolled: 2-line block ×9, first 2 shown]
	v_add_f16_e32 v18, v16, v6
	v_add_f16_e32 v19, v8, v10
	v_sub_f16_e32 v20, v42, v48
	v_sub_f16_e32 v22, v6, v8
	;; [unrolled: 1-line block ×3, first 2 shown]
	v_add_f16_e32 v24, v6, v12
	v_add_f16_e32 v32, v31, v42
	;; [unrolled: 1-line block ×3, first 2 shown]
	v_sub_f16_e32 v35, v42, v44
	v_add_f16_e32 v37, v42, v48
	v_sub_f16_e32 v38, v44, v42
	v_add_f16_e32 v40, v17, v7
	v_add_f16_e32 v42, v9, v11
	v_add_f16_e32 v58, v45, v47
	v_add_f16_e32 v54, v7, v13
	v_add_f16_e32 v62, v43, v49
	v_sub_f16_e32 v25, v8, v6
	v_sub_f16_e32 v27, v10, v12
	v_sub_f16_e32 v34, v8, v10
	v_sub_f16_e32 v36, v48, v46
	v_sub_f16_e32 v50, v43, v49
	v_sub_f16_e32 v52, v7, v9
	v_sub_f16_e32 v55, v9, v7
	v_add_f16_e32 v57, v41, v43
	v_sub_f16_e32 v7, v7, v13
	v_sub_f16_e32 v59, v9, v11
	v_add_f16_e32 v8, v18, v8
	v_fma_f16 v18, -0.5, v19, v16
	v_add_f16_e32 v19, v22, v23
	v_fmac_f16_e32 v16, -0.5, v24
	v_add_f16_e32 v23, v32, v44
	v_fma_f16 v24, -0.5, v33, v31
	v_fmac_f16_e32 v31, -0.5, v37
	v_add_f16_e32 v9, v40, v9
	v_fma_f16 v32, -0.5, v42, v17
	v_fma_f16 v37, -0.5, v58, v41
	v_sub_f16_e32 v51, v45, v47
	v_fmac_f16_e32 v17, -0.5, v54
	v_fmac_f16_e32 v41, -0.5, v62
	v_sub_f16_e32 v39, v46, v48
	v_sub_f16_e32 v53, v13, v11
	;; [unrolled: 1-line block ×7, first 2 shown]
	v_add_f16_e32 v22, v25, v27
	v_add_f16_e32 v25, v35, v36
	;; [unrolled: 1-line block ×4, first 2 shown]
	v_fmamk_f16 v11, v50, 0x3b9c, v32
	v_fmamk_f16 v45, v7, 0xbb9c, v37
	v_sub_f16_e32 v21, v44, v46
	v_add_f16_e32 v23, v23, v46
	v_fmamk_f16 v44, v51, 0xbb9c, v17
	v_fmac_f16_e32 v17, 0x3b9c, v51
	v_fmamk_f16 v46, v59, 0x3b9c, v41
	v_fmac_f16_e32 v41, 0xbb9c, v59
	v_sub_f16_e32 v6, v6, v12
	v_fmac_f16_e32 v32, 0xbb9c, v50
	v_fmac_f16_e32 v37, 0x3b9c, v7
	v_add_f16_e32 v27, v38, v39
	v_add_f16_e32 v33, v52, v53
	;; [unrolled: 1-line block ×5, first 2 shown]
	v_fmamk_f16 v43, v34, 0x3b9c, v31
	v_fmac_f16_e32 v31, 0xbb9c, v34
	v_add_f16_e32 v36, v36, v47
	v_fmac_f16_e32 v11, 0x38b4, v51
	v_fmac_f16_e32 v45, 0xb8b4, v59
	v_add_f16_e32 v35, v55, v56
	v_fmamk_f16 v10, v20, 0x3b9c, v18
	v_fmac_f16_e32 v18, 0xbb9c, v20
	v_fmamk_f16 v40, v21, 0xbb9c, v16
	v_fmac_f16_e32 v16, 0x3b9c, v21
	v_fmac_f16_e32 v44, 0x38b4, v50
	;; [unrolled: 1-line block ×5, first 2 shown]
	v_fmamk_f16 v42, v6, 0xbb9c, v24
	v_fmac_f16_e32 v24, 0x3b9c, v6
	v_fmac_f16_e32 v32, 0xb8b4, v51
	;; [unrolled: 1-line block ×3, first 2 shown]
	v_add_f16_e32 v8, v8, v12
	v_add_f16_e32 v12, v23, v48
	v_fmac_f16_e32 v43, 0xb8b4, v6
	v_fmac_f16_e32 v31, 0x38b4, v6
	v_add_f16_e32 v6, v9, v13
	v_add_f16_e32 v9, v36, v49
	v_fmac_f16_e32 v11, 0x34f2, v33
	v_fmac_f16_e32 v45, 0x34f2, v38
	;; [unrolled: 1-line block ×14, first 2 shown]
	v_add_f16_e32 v7, v8, v6
	v_add_f16_e32 v13, v12, v9
	v_sub_f16_e32 v6, v8, v6
	v_sub_f16_e32 v8, v12, v9
	v_mul_f16_e32 v9, 0x38b4, v45
	v_mul_f16_e32 v21, 0xb8b4, v11
	v_fmac_f16_e32 v10, 0x34f2, v19
	v_fmac_f16_e32 v18, 0x34f2, v19
	v_fmac_f16_e32 v40, 0x34f2, v22
	v_fmac_f16_e32 v16, 0x34f2, v22
	v_mul_f16_e32 v12, 0x3b9c, v46
	v_mul_f16_e32 v19, 0x34f2, v17
	v_mul_f16_e32 v22, 0xbb9c, v44
	v_mul_f16_e32 v23, 0x34f2, v41
	v_fmac_f16_e32 v42, 0x34f2, v25
	v_fmac_f16_e32 v24, 0x34f2, v25
	v_mul_f16_e32 v20, 0x3a79, v32
	v_mul_f16_e32 v25, 0x3a79, v37
	v_fmac_f16_e32 v9, 0x3a79, v11
	v_fmac_f16_e32 v21, 0x3a79, v45
	;; [unrolled: 1-line block ×4, first 2 shown]
	v_pack_b32_f16 v7, v7, v13
	v_pack_b32_f16 v6, v6, v8
	v_fmac_f16_e32 v12, 0x34f2, v44
	v_fma_f16 v8, v41, 0x3b9c, -v19
	v_fmac_f16_e32 v22, 0x34f2, v46
	v_fma_f16 v13, v17, 0xbb9c, -v23
	v_fma_f16 v11, v37, 0x38b4, -v20
	;; [unrolled: 1-line block ×3, first 2 shown]
	v_add_f16_e32 v19, v10, v9
	v_add_f16_e32 v27, v42, v21
	;; [unrolled: 1-line block ×8, first 2 shown]
	v_sub_f16_e32 v9, v10, v9
	v_sub_f16_e32 v10, v40, v12
	v_sub_f16_e32 v8, v16, v8
	v_sub_f16_e32 v12, v42, v21
	v_sub_f16_e32 v16, v43, v22
	v_sub_f16_e32 v11, v18, v11
	v_sub_f16_e32 v13, v31, v13
	v_sub_f16_e32 v17, v24, v17
	v_pack_b32_f16 v18, v19, v27
	v_pack_b32_f16 v19, v20, v32
	;; [unrolled: 1-line block ×8, first 2 shown]
	ds_store_2addr_b32 v26, v7, v18 offset1:5
	ds_store_2addr_b32 v26, v19, v20 offset0:10 offset1:15
	ds_store_2addr_b32 v26, v21, v6 offset0:20 offset1:25
	;; [unrolled: 1-line block ×4, first 2 shown]
	global_wb scope:SCOPE_SE
	s_wait_dscnt 0x0
	s_barrier_signal -1
	s_barrier_wait -1
	global_inv scope:SCOPE_SE
	s_clause 0x2
	global_load_b128 v[6:9], v30, s[4:5] offset:180
	global_load_b128 v[10:13], v30, s[4:5] offset:196
	global_load_b32 v25, v30, s[4:5] offset:212
	ds_load_2addr_b32 v[17:18], v14 offset1:150
	ds_load_2addr_b32 v[19:20], v15 offset0:4 offset1:154
	ds_load_2addr_b32 v[21:22], v5 offset0:48 offset1:198
	;; [unrolled: 1-line block ×4, first 2 shown]
	v_lshlrev_b32_e32 v26, 2, v29
	v_and_b32_e32 v16, 0xffff, v28
	global_wb scope:SCOPE_SE
	s_wait_loadcnt_dscnt 0x0
	s_barrier_signal -1
	s_barrier_wait -1
	global_inv scope:SCOPE_SE
	v_mul_u32_u24_e32 v16, 0x7d0, v16
	s_delay_alu instid0(VALU_DEP_1)
	v_add3_u32 v26, 0, v16, v26
	v_add_nc_u32_e32 v16, 0xa00, v14
	v_lshrrev_b32_e32 v33, 16, v18
	v_lshrrev_b32_e32 v29, 16, v19
	;; [unrolled: 1-line block ×10, first 2 shown]
	v_add_nc_u32_e32 v27, 0x400, v26
	v_lshrrev_b32_e32 v38, 16, v6
	v_lshrrev_b32_e32 v39, 16, v7
	;; [unrolled: 1-line block ×9, first 2 shown]
	v_mul_f16_e32 v47, v38, v33
	v_mul_f16_e32 v38, v38, v18
	;; [unrolled: 1-line block ×18, first 2 shown]
	v_fma_f16 v18, v6, v18, -v47
	v_fmac_f16_e32 v38, v6, v33
	v_fma_f16 v6, v7, v23, -v48
	v_fmac_f16_e32 v39, v7, v34
	;; [unrolled: 2-line block ×9, first 2 shown]
	v_add_f16_e32 v12, v17, v6
	v_add_f16_e32 v13, v4, v8
	v_sub_f16_e32 v19, v39, v45
	v_sub_f16_e32 v21, v6, v4
	;; [unrolled: 1-line block ×3, first 2 shown]
	v_add_f16_e32 v23, v6, v10
	v_add_f16_e32 v29, v28, v39
	;; [unrolled: 1-line block ×3, first 2 shown]
	v_sub_f16_e32 v32, v39, v41
	v_add_f16_e32 v34, v39, v45
	v_sub_f16_e32 v35, v41, v39
	v_add_f16_e32 v37, v18, v7
	v_add_f16_e32 v39, v5, v9
	;; [unrolled: 1-line block ×5, first 2 shown]
	v_sub_f16_e32 v24, v4, v6
	v_sub_f16_e32 v25, v8, v10
	;; [unrolled: 1-line block ×7, first 2 shown]
	v_add_f16_e32 v54, v38, v40
	v_sub_f16_e32 v7, v7, v11
	v_sub_f16_e32 v56, v5, v9
	v_add_f16_e32 v4, v12, v4
	v_fma_f16 v12, -0.5, v13, v17
	v_add_f16_e32 v13, v21, v22
	v_fmac_f16_e32 v17, -0.5, v23
	v_add_f16_e32 v22, v29, v41
	v_fma_f16 v23, -0.5, v30, v28
	v_fmac_f16_e32 v28, -0.5, v34
	v_add_f16_e32 v5, v37, v5
	v_fma_f16 v29, -0.5, v39, v18
	v_fma_f16 v34, -0.5, v55, v38
	v_sub_f16_e32 v48, v42, v44
	v_fmac_f16_e32 v18, -0.5, v51
	v_fmac_f16_e32 v38, -0.5, v59
	v_sub_f16_e32 v36, v43, v45
	v_sub_f16_e32 v50, v11, v9
	;; [unrolled: 1-line block ×7, first 2 shown]
	v_add_f16_e32 v21, v24, v25
	v_add_f16_e32 v24, v32, v33
	v_add_f16_e32 v33, v54, v42
	v_add_f16_e32 v5, v5, v9
	v_fmamk_f16 v9, v47, 0x3b9c, v29
	v_fmamk_f16 v42, v7, 0xbb9c, v34
	v_sub_f16_e32 v20, v41, v43
	v_add_f16_e32 v22, v22, v43
	v_fmamk_f16 v41, v48, 0xbb9c, v18
	v_fmac_f16_e32 v18, 0x3b9c, v48
	v_fmamk_f16 v43, v56, 0x3b9c, v38
	v_fmac_f16_e32 v38, 0xbb9c, v56
	v_sub_f16_e32 v6, v6, v10
	v_fmac_f16_e32 v29, 0xbb9c, v47
	v_fmac_f16_e32 v34, 0x3b9c, v7
	v_add_f16_e32 v25, v35, v36
	v_add_f16_e32 v30, v49, v50
	v_add_f16_e32 v35, v57, v58
	v_add_f16_e32 v36, v40, v60
	v_add_f16_e32 v4, v4, v8
	v_fmamk_f16 v40, v31, 0x3b9c, v28
	v_fmac_f16_e32 v28, 0xbb9c, v31
	v_add_f16_e32 v33, v33, v44
	v_fmac_f16_e32 v9, 0x38b4, v48
	v_fmac_f16_e32 v42, 0xb8b4, v56
	v_add_f16_e32 v32, v52, v53
	v_fmamk_f16 v8, v19, 0x3b9c, v12
	v_fmac_f16_e32 v12, 0xbb9c, v19
	v_fmamk_f16 v37, v20, 0xbb9c, v17
	v_fmac_f16_e32 v17, 0x3b9c, v20
	v_fmac_f16_e32 v41, 0x38b4, v47
	;; [unrolled: 1-line block ×5, first 2 shown]
	v_fmamk_f16 v39, v6, 0xbb9c, v23
	v_fmac_f16_e32 v23, 0x3b9c, v6
	v_fmac_f16_e32 v29, 0xb8b4, v48
	v_fmac_f16_e32 v34, 0x38b4, v56
	v_add_f16_e32 v4, v4, v10
	v_add_f16_e32 v10, v22, v45
	v_fmac_f16_e32 v40, 0xb8b4, v6
	v_fmac_f16_e32 v28, 0x38b4, v6
	v_add_f16_e32 v5, v5, v11
	v_add_f16_e32 v6, v33, v46
	v_fmac_f16_e32 v9, 0x34f2, v30
	v_fmac_f16_e32 v42, 0x34f2, v35
	;; [unrolled: 1-line block ×14, first 2 shown]
	v_add_f16_e32 v7, v4, v5
	v_add_f16_e32 v11, v10, v6
	v_sub_f16_e32 v4, v4, v5
	v_sub_f16_e32 v5, v10, v6
	v_mul_f16_e32 v6, 0x38b4, v42
	v_mul_f16_e32 v20, 0xb8b4, v9
	v_fmac_f16_e32 v8, 0x34f2, v13
	v_fmac_f16_e32 v12, 0x34f2, v13
	;; [unrolled: 1-line block ×4, first 2 shown]
	v_mul_f16_e32 v10, 0x3b9c, v43
	v_mul_f16_e32 v13, 0x34f2, v18
	;; [unrolled: 1-line block ×4, first 2 shown]
	v_fmac_f16_e32 v39, 0x34f2, v24
	v_fmac_f16_e32 v23, 0x34f2, v24
	v_mul_f16_e32 v19, 0x3a79, v29
	v_mul_f16_e32 v24, 0x3a79, v34
	v_fmac_f16_e32 v6, 0x3a79, v9
	v_fmac_f16_e32 v20, 0x3a79, v42
	;; [unrolled: 1-line block ×4, first 2 shown]
	v_pack_b32_f16 v7, v7, v11
	v_pack_b32_f16 v4, v4, v5
	v_fmac_f16_e32 v10, 0x34f2, v41
	v_fma_f16 v5, v38, 0x3b9c, -v13
	v_fmac_f16_e32 v21, 0x34f2, v43
	v_fma_f16 v11, v18, 0xbb9c, -v22
	v_fma_f16 v9, v34, 0x38b4, -v19
	;; [unrolled: 1-line block ×3, first 2 shown]
	v_add_f16_e32 v19, v8, v6
	v_add_f16_e32 v29, v39, v20
	;; [unrolled: 1-line block ×8, first 2 shown]
	v_sub_f16_e32 v6, v8, v6
	v_sub_f16_e32 v8, v37, v10
	;; [unrolled: 1-line block ×8, first 2 shown]
	v_pack_b32_f16 v12, v19, v29
	v_pack_b32_f16 v13, v22, v30
	;; [unrolled: 1-line block ×8, first 2 shown]
	ds_store_2addr_b32 v26, v7, v12 offset1:50
	ds_store_2addr_b32 v26, v13, v19 offset0:100 offset1:150
	ds_store_2addr_b32 v26, v20, v4 offset0:200 offset1:250
	;; [unrolled: 1-line block ×4, first 2 shown]
	global_wb scope:SCOPE_SE
	s_wait_dscnt 0x0
	s_barrier_signal -1
	s_barrier_wait -1
	global_inv scope:SCOPE_SE
	ds_load_2addr_b32 v[6:7], v14 offset1:150
	ds_load_2addr_b32 v[4:5], v1 offset0:44 offset1:244
	ds_load_2addr_b32 v[12:13], v15 offset0:104 offset1:254
	;; [unrolled: 1-line block ×3, first 2 shown]
	ds_load_b32 v23, v14 offset:5200
                                        ; implicit-def: $vgpr20
                                        ; implicit-def: $vgpr19
                                        ; implicit-def: $vgpr22
                                        ; implicit-def: $vgpr21
	s_and_saveexec_b32 s1, s0
	s_cbranch_execz .LBB0_19
; %bb.18:
	ds_load_b32 v17, v14 offset:1800
	ds_load_b32 v19, v14 offset:5800
	;; [unrolled: 1-line block ×3, first 2 shown]
	s_wait_dscnt 0x2
	v_lshrrev_b32_e32 v18, 16, v17
	s_wait_dscnt 0x1
	v_lshrrev_b32_e32 v20, 16, v19
	;; [unrolled: 2-line block ×3, first 2 shown]
.LBB0_19:
	s_wait_alu 0xfffe
	s_or_b32 exec_lo, exec_lo, s1
	v_dual_mov_b32 v9, 0 :: v_dual_lshlrev_b32 v8, 1, v0
	s_wait_dscnt 0x2
	v_lshrrev_b32_e32 v36, 16, v12
	v_lshrrev_b32_e32 v37, 16, v5
	s_wait_dscnt 0x0
	v_lshrrev_b32_e32 v32, 16, v23
	v_dual_mov_b32 v27, v9 :: v_dual_add_nc_u32 v26, 0x12c, v8
	v_lshlrev_b64_e32 v[24:25], 2, v[8:9]
	v_add_nc_u32_e32 v8, 0x258, v8
	v_lshrrev_b32_e32 v33, 16, v11
	v_lshrrev_b32_e32 v34, 16, v13
	v_lshlrev_b64_e32 v[26:27], 2, v[26:27]
	v_lshrrev_b32_e32 v35, 16, v10
	v_add_co_u32 v24, s1, s4, v24
	v_lshlrev_b64_e32 v[28:29], 2, v[8:9]
	s_wait_alu 0xf1ff
	v_add_co_ci_u32_e64 v25, s1, s5, v25, s1
	v_add_co_u32 v26, s1, s4, v26
	s_wait_alu 0xf1ff
	v_add_co_ci_u32_e64 v27, s1, s5, v27, s1
	v_add_co_u32 v28, s1, s4, v28
	global_load_b64 v[24:25], v[24:25], off offset:1980
	s_wait_alu 0xf1ff
	v_add_co_ci_u32_e64 v29, s1, s5, v29, s1
	s_clause 0x1
	global_load_b64 v[26:27], v[26:27], off offset:1980
	global_load_b64 v[28:29], v[28:29], off offset:1980
	v_lshrrev_b32_e32 v8, 16, v6
	v_lshrrev_b32_e32 v30, 16, v7
	;; [unrolled: 1-line block ×3, first 2 shown]
	global_wb scope:SCOPE_SE
	s_wait_loadcnt 0x0
	s_barrier_signal -1
	s_barrier_wait -1
	global_inv scope:SCOPE_SE
	v_lshrrev_b32_e32 v38, 16, v24
	v_lshrrev_b32_e32 v39, 16, v25
	;; [unrolled: 1-line block ×3, first 2 shown]
	s_delay_alu instid0(VALU_DEP_3) | instskip(SKIP_1) | instid1(VALU_DEP_4)
	v_mul_f16_e32 v40, v38, v37
	v_mul_f16_e32 v38, v38, v5
	;; [unrolled: 1-line block ×4, first 2 shown]
	v_lshrrev_b32_e32 v43, 16, v27
	v_lshrrev_b32_e32 v44, 16, v28
	;; [unrolled: 1-line block ×3, first 2 shown]
	v_fma_f16 v5, v24, v5, -v40
	v_fmac_f16_e32 v38, v24, v37
	v_fma_f16 v12, v25, v12, -v41
	v_fmac_f16_e32 v39, v25, v36
	v_mul_f16_e32 v24, v42, v35
	v_mul_f16_e32 v25, v42, v10
	;; [unrolled: 1-line block ×8, first 2 shown]
	v_fma_f16 v10, v26, v10, -v24
	v_fmac_f16_e32 v25, v26, v35
	v_fma_f16 v13, v27, v13, -v36
	v_fmac_f16_e32 v37, v27, v34
	;; [unrolled: 2-line block ×4, first 2 shown]
	v_add_f16_e32 v24, v6, v5
	v_add_f16_e32 v28, v8, v38
	;; [unrolled: 1-line block ×4, first 2 shown]
	v_sub_f16_e32 v5, v5, v12
	v_add_f16_e32 v12, v24, v12
	v_add_f16_e32 v24, v28, v39
	v_fmac_f16_e32 v8, -0.5, v29
	v_add_f16_e32 v28, v10, v13
	v_sub_f16_e32 v29, v25, v37
	v_add_f16_e32 v32, v30, v25
	v_add_f16_e32 v25, v25, v37
	v_sub_f16_e32 v27, v38, v39
	v_add_f16_e32 v34, v11, v23
	v_add_f16_e32 v38, v41, v43
	v_fma_f16 v6, -0.5, v26, v6
	v_add_f16_e32 v26, v7, v10
	v_add_f16_e32 v33, v4, v11
	;; [unrolled: 1-line block ×3, first 2 shown]
	v_sub_f16_e32 v10, v10, v13
	v_fmac_f16_e32 v7, -0.5, v28
	v_fmac_f16_e32 v30, -0.5, v25
	v_sub_f16_e32 v35, v41, v43
	v_sub_f16_e32 v11, v11, v23
	v_fmac_f16_e32 v4, -0.5, v34
	v_fmac_f16_e32 v31, -0.5, v38
	v_fmamk_f16 v39, v27, 0x3aee, v6
	v_fmac_f16_e32 v6, 0xbaee, v27
	v_fmamk_f16 v27, v5, 0xbaee, v8
	v_fmac_f16_e32 v8, 0x3aee, v5
	v_add_f16_e32 v5, v26, v13
	v_add_f16_e32 v13, v32, v37
	;; [unrolled: 1-line block ×4, first 2 shown]
	v_pack_b32_f16 v12, v12, v24
	v_fmamk_f16 v24, v29, 0x3aee, v7
	v_fmac_f16_e32 v7, 0xbaee, v29
	v_fmamk_f16 v26, v10, 0xbaee, v30
	v_fmac_f16_e32 v30, 0x3aee, v10
	v_fmamk_f16 v10, v35, 0x3aee, v4
	v_fmamk_f16 v28, v11, 0xbaee, v31
	v_fmac_f16_e32 v4, 0xbaee, v35
	v_fmac_f16_e32 v31, 0x3aee, v11
	v_pack_b32_f16 v5, v5, v13
	v_pack_b32_f16 v11, v39, v27
	;; [unrolled: 1-line block ×8, first 2 shown]
	ds_store_2addr_b32 v14, v12, v5 offset1:150
	ds_store_2addr_b32 v1, v8, v11 offset0:44 offset1:244
	ds_store_2addr_b32 v15, v6, v7 offset0:104 offset1:254
	;; [unrolled: 1-line block ×3, first 2 shown]
	ds_store_b32 v14, v4 offset:5200
	s_and_saveexec_b32 s1, s0
	s_cbranch_execz .LBB0_21
; %bb.20:
	v_mov_b32_e32 v1, 0x1c2
	s_delay_alu instid0(VALU_DEP_1) | instskip(NEXT) | instid1(VALU_DEP_1)
	v_cndmask_b32_e64 v1, 0xffffffce, v1, s0
	v_add_lshl_u32 v8, v0, v1, 1
	s_delay_alu instid0(VALU_DEP_1) | instskip(NEXT) | instid1(VALU_DEP_1)
	v_lshlrev_b64_e32 v[4:5], 2, v[8:9]
	v_add_co_u32 v4, s0, s4, v4
	s_wait_alu 0xf1ff
	s_delay_alu instid0(VALU_DEP_2) | instskip(SKIP_4) | instid1(VALU_DEP_2)
	v_add_co_ci_u32_e64 v5, s0, s5, v5, s0
	global_load_b64 v[4:5], v[4:5], off offset:1980
	s_wait_loadcnt 0x0
	v_lshrrev_b32_e32 v1, 16, v4
	v_lshrrev_b32_e32 v6, 16, v5
	v_mul_f16_e32 v7, v22, v1
	v_mul_f16_e32 v1, v21, v1
	s_delay_alu instid0(VALU_DEP_3) | instskip(SKIP_1) | instid1(VALU_DEP_4)
	v_mul_f16_e32 v8, v19, v6
	v_mul_f16_e32 v6, v20, v6
	v_fma_f16 v7, v21, v4, -v7
	s_delay_alu instid0(VALU_DEP_4) | instskip(NEXT) | instid1(VALU_DEP_4)
	v_fmac_f16_e32 v1, v22, v4
	v_fmac_f16_e32 v8, v20, v5
	s_delay_alu instid0(VALU_DEP_4) | instskip(NEXT) | instid1(VALU_DEP_3)
	v_fma_f16 v4, v19, v5, -v6
	v_add_f16_e32 v10, v18, v1
	s_delay_alu instid0(VALU_DEP_3) | instskip(NEXT) | instid1(VALU_DEP_3)
	v_add_f16_e32 v5, v1, v8
	v_add_f16_e32 v9, v7, v4
	v_sub_f16_e32 v6, v7, v4
	v_add_f16_e32 v7, v17, v7
	v_sub_f16_e32 v1, v1, v8
	v_fma_f16 v5, -0.5, v5, v18
	v_fma_f16 v9, -0.5, v9, v17
	v_add_f16_e32 v8, v10, v8
	v_add_f16_e32 v4, v7, v4
	s_delay_alu instid0(VALU_DEP_4) | instskip(SKIP_4) | instid1(VALU_DEP_2)
	v_fmamk_f16 v7, v6, 0x3aee, v5
	v_fmac_f16_e32 v5, 0xbaee, v6
	v_fmamk_f16 v6, v1, 0xbaee, v9
	v_fmac_f16_e32 v9, 0x3aee, v1
	v_pack_b32_f16 v1, v4, v8
	v_pack_b32_f16 v4, v9, v5
	s_delay_alu instid0(VALU_DEP_4)
	v_pack_b32_f16 v5, v6, v7
	ds_store_b32 v14, v1 offset:1800
	ds_store_b32 v14, v4 offset:3800
	;; [unrolled: 1-line block ×3, first 2 shown]
.LBB0_21:
	s_wait_alu 0xfffe
	s_or_b32 exec_lo, exec_lo, s1
	global_wb scope:SCOPE_SE
	s_wait_dscnt 0x0
	s_barrier_signal -1
	s_barrier_wait -1
	global_inv scope:SCOPE_SE
	s_and_saveexec_b32 s0, vcc_lo
	s_cbranch_execz .LBB0_23
; %bb.22:
	v_mov_b32_e32 v1, 0
	v_add_co_u32 v30, vcc_lo, s8, v2
	v_add_nc_u32_e32 v2, 0x96, v0
	s_wait_alu 0xfffd
	v_add_co_ci_u32_e32 v31, vcc_lo, s9, v3, vcc_lo
	v_dual_mov_b32 v3, v1 :: v_dual_add_nc_u32 v8, 0x12c, v0
	v_lshlrev_b64_e32 v[4:5], 2, v[0:1]
	v_lshl_add_u32 v28, v0, 2, 0
	v_mov_b32_e32 v9, v1
	s_delay_alu instid0(VALU_DEP_4)
	v_lshlrev_b64_e32 v[2:3], 2, v[2:3]
	v_dual_mov_b32 v11, v1 :: v_dual_add_nc_u32 v10, 0x1c2, v0
	v_add_co_u32 v4, vcc_lo, v30, v4
	v_add_nc_u32_e32 v12, 0x400, v28
	v_lshlrev_b64_e32 v[8:9], 2, v[8:9]
	v_dual_mov_b32 v15, v1 :: v_dual_add_nc_u32 v14, 0x258, v0
	s_wait_alu 0xfffd
	v_add_co_ci_u32_e32 v5, vcc_lo, v31, v5, vcc_lo
	v_add_co_u32 v2, vcc_lo, v30, v2
	v_lshlrev_b64_e32 v[10:11], 2, v[10:11]
	v_dual_mov_b32 v19, v1 :: v_dual_add_nc_u32 v16, 0x800, v28
	v_dual_mov_b32 v21, v1 :: v_dual_add_nc_u32 v18, 0x2ee, v0
	s_wait_alu 0xfffd
	v_add_co_ci_u32_e32 v3, vcc_lo, v31, v3, vcc_lo
	v_add_co_u32 v8, vcc_lo, v30, v8
	v_lshlrev_b64_e32 v[14:15], 2, v[14:15]
	v_dual_mov_b32 v23, v1 :: v_dual_add_nc_u32 v20, 0x384, v0
	s_wait_alu 0xfffd
	v_add_co_ci_u32_e32 v9, vcc_lo, v31, v9, vcc_lo
	ds_load_2addr_b32 v[6:7], v28 offset1:150
	v_add_co_u32 v10, vcc_lo, v30, v10
	v_lshlrev_b64_e32 v[18:19], 2, v[18:19]
	v_dual_mov_b32 v27, v1 :: v_dual_add_nc_u32 v24, 0xe00, v28
	v_add_nc_u32_e32 v22, 0x41a, v0
	ds_load_2addr_b32 v[12:13], v12 offset0:44 offset1:194
	s_wait_alu 0xfffd
	v_add_co_ci_u32_e32 v11, vcc_lo, v31, v11, vcc_lo
	v_add_co_u32 v14, vcc_lo, v30, v14
	v_lshlrev_b64_e32 v[20:21], 2, v[20:21]
	v_add_nc_u32_e32 v28, 0x1200, v28
	ds_load_2addr_b32 v[16:17], v16 offset0:88 offset1:238
	v_add_nc_u32_e32 v26, 0x4b0, v0
	s_wait_alu 0xfffd
	v_add_co_ci_u32_e32 v15, vcc_lo, v31, v15, vcc_lo
	v_add_co_u32 v18, vcc_lo, v30, v18
	ds_load_2addr_b32 v[24:25], v24 offset0:4 offset1:154
	v_lshlrev_b64_e32 v[22:23], 2, v[22:23]
	v_add_nc_u32_e32 v0, 0x546, v0
	s_wait_alu 0xfffd
	v_add_co_ci_u32_e32 v19, vcc_lo, v31, v19, vcc_lo
	ds_load_2addr_b32 v[28:29], v28 offset0:48 offset1:198
	v_add_co_u32 v20, vcc_lo, v30, v20
	v_lshlrev_b64_e32 v[26:27], 2, v[26:27]
	s_wait_alu 0xfffd
	v_add_co_ci_u32_e32 v21, vcc_lo, v31, v21, vcc_lo
	v_add_co_u32 v22, vcc_lo, v30, v22
	v_lshlrev_b64_e32 v[0:1], 2, v[0:1]
	s_wait_alu 0xfffd
	v_add_co_ci_u32_e32 v23, vcc_lo, v31, v23, vcc_lo
	v_add_co_u32 v26, vcc_lo, v30, v26
	s_wait_alu 0xfffd
	v_add_co_ci_u32_e32 v27, vcc_lo, v31, v27, vcc_lo
	v_add_co_u32 v0, vcc_lo, v30, v0
	s_wait_alu 0xfffd
	v_add_co_ci_u32_e32 v1, vcc_lo, v31, v1, vcc_lo
	s_wait_dscnt 0x4
	s_clause 0x1
	global_store_b32 v[4:5], v6, off
	global_store_b32 v[2:3], v7, off
	s_wait_dscnt 0x3
	s_clause 0x1
	global_store_b32 v[8:9], v12, off
	global_store_b32 v[10:11], v13, off
	;; [unrolled: 4-line block ×5, first 2 shown]
.LBB0_23:
	s_nop 0
	s_sendmsg sendmsg(MSG_DEALLOC_VGPRS)
	s_endpgm
	.section	.rodata,"a",@progbits
	.p2align	6, 0x0
	.amdhsa_kernel fft_rtc_fwd_len1500_factors_5_10_10_3_wgs_150_tpt_150_halfLds_half_ip_CI_unitstride_sbrr_C2R_dirReg
		.amdhsa_group_segment_fixed_size 0
		.amdhsa_private_segment_fixed_size 0
		.amdhsa_kernarg_size 88
		.amdhsa_user_sgpr_count 2
		.amdhsa_user_sgpr_dispatch_ptr 0
		.amdhsa_user_sgpr_queue_ptr 0
		.amdhsa_user_sgpr_kernarg_segment_ptr 1
		.amdhsa_user_sgpr_dispatch_id 0
		.amdhsa_user_sgpr_private_segment_size 0
		.amdhsa_wavefront_size32 1
		.amdhsa_uses_dynamic_stack 0
		.amdhsa_enable_private_segment 0
		.amdhsa_system_sgpr_workgroup_id_x 1
		.amdhsa_system_sgpr_workgroup_id_y 0
		.amdhsa_system_sgpr_workgroup_id_z 0
		.amdhsa_system_sgpr_workgroup_info 0
		.amdhsa_system_vgpr_workitem_id 0
		.amdhsa_next_free_vgpr 64
		.amdhsa_next_free_sgpr 32
		.amdhsa_reserve_vcc 1
		.amdhsa_float_round_mode_32 0
		.amdhsa_float_round_mode_16_64 0
		.amdhsa_float_denorm_mode_32 3
		.amdhsa_float_denorm_mode_16_64 3
		.amdhsa_fp16_overflow 0
		.amdhsa_workgroup_processor_mode 1
		.amdhsa_memory_ordered 1
		.amdhsa_forward_progress 0
		.amdhsa_round_robin_scheduling 0
		.amdhsa_exception_fp_ieee_invalid_op 0
		.amdhsa_exception_fp_denorm_src 0
		.amdhsa_exception_fp_ieee_div_zero 0
		.amdhsa_exception_fp_ieee_overflow 0
		.amdhsa_exception_fp_ieee_underflow 0
		.amdhsa_exception_fp_ieee_inexact 0
		.amdhsa_exception_int_div_zero 0
	.end_amdhsa_kernel
	.text
.Lfunc_end0:
	.size	fft_rtc_fwd_len1500_factors_5_10_10_3_wgs_150_tpt_150_halfLds_half_ip_CI_unitstride_sbrr_C2R_dirReg, .Lfunc_end0-fft_rtc_fwd_len1500_factors_5_10_10_3_wgs_150_tpt_150_halfLds_half_ip_CI_unitstride_sbrr_C2R_dirReg
                                        ; -- End function
	.section	.AMDGPU.csdata,"",@progbits
; Kernel info:
; codeLenInByte = 8408
; NumSgprs: 34
; NumVgprs: 64
; ScratchSize: 0
; MemoryBound: 0
; FloatMode: 240
; IeeeMode: 1
; LDSByteSize: 0 bytes/workgroup (compile time only)
; SGPRBlocks: 4
; VGPRBlocks: 7
; NumSGPRsForWavesPerEU: 34
; NumVGPRsForWavesPerEU: 64
; Occupancy: 15
; WaveLimiterHint : 1
; COMPUTE_PGM_RSRC2:SCRATCH_EN: 0
; COMPUTE_PGM_RSRC2:USER_SGPR: 2
; COMPUTE_PGM_RSRC2:TRAP_HANDLER: 0
; COMPUTE_PGM_RSRC2:TGID_X_EN: 1
; COMPUTE_PGM_RSRC2:TGID_Y_EN: 0
; COMPUTE_PGM_RSRC2:TGID_Z_EN: 0
; COMPUTE_PGM_RSRC2:TIDIG_COMP_CNT: 0
	.text
	.p2alignl 7, 3214868480
	.fill 96, 4, 3214868480
	.type	__hip_cuid_10a942c9cca0861a,@object ; @__hip_cuid_10a942c9cca0861a
	.section	.bss,"aw",@nobits
	.globl	__hip_cuid_10a942c9cca0861a
__hip_cuid_10a942c9cca0861a:
	.byte	0                               ; 0x0
	.size	__hip_cuid_10a942c9cca0861a, 1

	.ident	"AMD clang version 19.0.0git (https://github.com/RadeonOpenCompute/llvm-project roc-6.4.0 25133 c7fe45cf4b819c5991fe208aaa96edf142730f1d)"
	.section	".note.GNU-stack","",@progbits
	.addrsig
	.addrsig_sym __hip_cuid_10a942c9cca0861a
	.amdgpu_metadata
---
amdhsa.kernels:
  - .args:
      - .actual_access:  read_only
        .address_space:  global
        .offset:         0
        .size:           8
        .value_kind:     global_buffer
      - .offset:         8
        .size:           8
        .value_kind:     by_value
      - .actual_access:  read_only
        .address_space:  global
        .offset:         16
        .size:           8
        .value_kind:     global_buffer
      - .actual_access:  read_only
        .address_space:  global
        .offset:         24
        .size:           8
        .value_kind:     global_buffer
      - .offset:         32
        .size:           8
        .value_kind:     by_value
      - .actual_access:  read_only
        .address_space:  global
        .offset:         40
        .size:           8
        .value_kind:     global_buffer
      - .actual_access:  read_only
        .address_space:  global
        .offset:         48
        .size:           8
        .value_kind:     global_buffer
      - .offset:         56
        .size:           4
        .value_kind:     by_value
      - .actual_access:  read_only
        .address_space:  global
        .offset:         64
        .size:           8
        .value_kind:     global_buffer
      - .actual_access:  read_only
        .address_space:  global
        .offset:         72
        .size:           8
        .value_kind:     global_buffer
      - .address_space:  global
        .offset:         80
        .size:           8
        .value_kind:     global_buffer
    .group_segment_fixed_size: 0
    .kernarg_segment_align: 8
    .kernarg_segment_size: 88
    .language:       OpenCL C
    .language_version:
      - 2
      - 0
    .max_flat_workgroup_size: 150
    .name:           fft_rtc_fwd_len1500_factors_5_10_10_3_wgs_150_tpt_150_halfLds_half_ip_CI_unitstride_sbrr_C2R_dirReg
    .private_segment_fixed_size: 0
    .sgpr_count:     34
    .sgpr_spill_count: 0
    .symbol:         fft_rtc_fwd_len1500_factors_5_10_10_3_wgs_150_tpt_150_halfLds_half_ip_CI_unitstride_sbrr_C2R_dirReg.kd
    .uniform_work_group_size: 1
    .uses_dynamic_stack: false
    .vgpr_count:     64
    .vgpr_spill_count: 0
    .wavefront_size: 32
    .workgroup_processor_mode: 1
amdhsa.target:   amdgcn-amd-amdhsa--gfx1201
amdhsa.version:
  - 1
  - 2
...

	.end_amdgpu_metadata
